;; amdgpu-corpus repo=ROCm/rocSPARSE kind=compiled arch=gfx1250 opt=O3
	.amdgcn_target "amdgcn-amd-amdhsa--gfx1250"
	.amdhsa_code_object_version 6
	.section	.text._ZN9rocsparseL18dotci_kernel_part1ILj256Ei21rocsparse_complex_numIfES2_S2_EEvT0_PKT1_PKS3_PKT2_PT3_21rocsparse_index_base_,"axG",@progbits,_ZN9rocsparseL18dotci_kernel_part1ILj256Ei21rocsparse_complex_numIfES2_S2_EEvT0_PKT1_PKS3_PKT2_PT3_21rocsparse_index_base_,comdat
	.globl	_ZN9rocsparseL18dotci_kernel_part1ILj256Ei21rocsparse_complex_numIfES2_S2_EEvT0_PKT1_PKS3_PKT2_PT3_21rocsparse_index_base_ ; -- Begin function _ZN9rocsparseL18dotci_kernel_part1ILj256Ei21rocsparse_complex_numIfES2_S2_EEvT0_PKT1_PKS3_PKT2_PT3_21rocsparse_index_base_
	.p2align	8
	.type	_ZN9rocsparseL18dotci_kernel_part1ILj256Ei21rocsparse_complex_numIfES2_S2_EEvT0_PKT1_PKS3_PKT2_PT3_21rocsparse_index_base_,@function
_ZN9rocsparseL18dotci_kernel_part1ILj256Ei21rocsparse_complex_numIfES2_S2_EEvT0_PKT1_PKS3_PKT2_PT3_21rocsparse_index_base_: ; @_ZN9rocsparseL18dotci_kernel_part1ILj256Ei21rocsparse_complex_numIfES2_S2_EEvT0_PKT1_PKS3_PKT2_PT3_21rocsparse_index_base_
; %bb.0:
	s_clause 0x1
	s_load_b32 s3, s[0:1], 0x0
	s_load_b256 s[4:11], s[0:1], 0x8
	s_bfe_u32 s2, ttmp6, 0x4000c
	s_and_b32 s12, ttmp6, 15
	s_add_co_i32 s2, s2, 1
	s_getreg_b32 s13, hwreg(HW_REG_IB_STS2, 6, 4)
	s_mul_i32 s2, ttmp9, s2
	v_mov_b32_e32 v3, 0
	s_add_co_i32 s12, s12, s2
	s_cmp_eq_u32 s13, 0
	s_mov_b32 s13, 0
	s_cselect_b32 s2, ttmp9, s12
	v_mov_b32_e32 v2, v3
	v_lshl_or_b32 v1, s2, 8, v0
	s_mov_b32 s12, exec_lo
	s_wait_kmcnt 0x0
	s_delay_alu instid0(VALU_DEP_1)
	v_cmpx_gt_i32_e64 s3, v1
	s_cbranch_execz .LBB0_4
; %bb.1:
	s_clause 0x1
	s_load_b32 s15, s[0:1], 0x30
	s_load_b32 s14, s[0:1], 0x28
	v_mov_b32_e32 v2, 0
	s_delay_alu instid0(VALU_DEP_1)
	v_mov_b32_e32 v3, v2
	s_wait_kmcnt 0x0
	s_lshl_b32 s0, s15, 8
.LBB0_2:                                ; =>This Inner Loop Header: Depth=1
	s_clause 0x1
	global_load_b32 v6, v1, s[6:7] scale_offset
	global_load_b64 v[4:5], v1, s[4:5] scale_offset
	s_wait_xcnt 0x0
	v_add_nc_u32_e32 v1, s0, v1
	s_delay_alu instid0(VALU_DEP_1)
	v_cmp_le_i32_e32 vcc_lo, s3, v1
	s_or_b32 s13, vcc_lo, s13
	s_wait_loadcnt 0x1
	v_subrev_nc_u32_e32 v6, s14, v6
	global_load_b64 v[6:7], v6, s[8:9] scale_offset
	s_wait_loadcnt 0x0
	v_pk_fma_f32 v[2:3], v[6:7], v[4:5], v[2:3] op_sel_hi:[1,0,1]
	s_delay_alu instid0(VALU_DEP_1)
	v_pk_fma_f32 v[2:3], v[6:7], v[4:5], v[2:3] op_sel:[1,1,0] op_sel_hi:[0,1,1] neg_hi:[0,1,0]
	s_and_not1_b32 exec_lo, exec_lo, s13
	s_cbranch_execnz .LBB0_2
; %bb.3:
	s_or_b32 exec_lo, exec_lo, s13
.LBB0_4:
	s_delay_alu instid0(SALU_CYCLE_1)
	s_or_b32 exec_lo, exec_lo, s12
	v_lshlrev_b32_e32 v1, 3, v0
	s_mov_b32 s0, exec_lo
	ds_store_b64 v1, v[2:3]
	s_wait_dscnt 0x0
	s_barrier_signal -1
	s_barrier_wait -1
	v_cmpx_gt_u32_e32 0x80, v0
	s_cbranch_execz .LBB0_6
; %bb.5:
	ds_load_2addr_stride64_b64 v[2:5], v1 offset1:2
	s_wait_dscnt 0x0
	v_pk_add_f32 v[2:3], v[4:5], v[2:3]
	ds_store_b64 v1, v[2:3]
.LBB0_6:
	s_or_b32 exec_lo, exec_lo, s0
	s_delay_alu instid0(SALU_CYCLE_1)
	s_mov_b32 s0, exec_lo
	s_wait_dscnt 0x0
	s_barrier_signal -1
	s_barrier_wait -1
	v_cmpx_gt_u32_e32 64, v0
	s_cbranch_execz .LBB0_8
; %bb.7:
	ds_load_2addr_stride64_b64 v[2:5], v1 offset1:1
	s_wait_dscnt 0x0
	v_pk_add_f32 v[2:3], v[4:5], v[2:3]
	ds_store_b64 v1, v[2:3]
.LBB0_8:
	s_or_b32 exec_lo, exec_lo, s0
	s_delay_alu instid0(SALU_CYCLE_1)
	s_mov_b32 s0, exec_lo
	s_wait_dscnt 0x0
	s_barrier_signal -1
	s_barrier_wait -1
	v_cmpx_gt_u32_e32 32, v0
	s_cbranch_execz .LBB0_10
; %bb.9:
	ds_load_2addr_b64 v[2:5], v1 offset1:32
	s_wait_dscnt 0x0
	v_pk_add_f32 v[2:3], v[4:5], v[2:3]
	ds_store_b64 v1, v[2:3]
.LBB0_10:
	s_or_b32 exec_lo, exec_lo, s0
	s_delay_alu instid0(SALU_CYCLE_1)
	s_mov_b32 s0, exec_lo
	s_wait_dscnt 0x0
	s_barrier_signal -1
	s_barrier_wait -1
	v_cmpx_gt_u32_e32 16, v0
	s_cbranch_execz .LBB0_12
; %bb.11:
	ds_load_2addr_b64 v[2:5], v1 offset1:16
	s_wait_dscnt 0x0
	v_pk_add_f32 v[2:3], v[4:5], v[2:3]
	ds_store_b64 v1, v[2:3]
.LBB0_12:
	;; [unrolled: 14-line block ×5, first 2 shown]
	s_or_b32 exec_lo, exec_lo, s0
	v_cmp_eq_u32_e32 vcc_lo, 0, v0
	s_wait_dscnt 0x0
	s_barrier_signal -1
	s_barrier_wait -1
	s_and_saveexec_b32 s0, vcc_lo
	s_cbranch_execz .LBB0_20
; %bb.19:
	v_mov_b32_e32 v4, 0
	ds_load_2addr_b64 v[0:3], v4 offset1:1
	s_wait_dscnt 0x0
	v_pk_add_f32 v[0:1], v[2:3], v[0:1]
	ds_store_b64 v4, v[0:1]
.LBB0_20:
	s_or_b32 exec_lo, exec_lo, s0
	s_wait_dscnt 0x0
	s_barrier_signal -1
	s_barrier_wait -1
	s_and_saveexec_b32 s0, vcc_lo
	s_cbranch_execz .LBB0_22
; %bb.21:
	v_dual_mov_b32 v0, 0 :: v_dual_mov_b32 v2, s2
	ds_load_b64 v[0:1], v0
	s_wait_dscnt 0x0
	global_store_b64 v2, v[0:1], s[10:11] scale_offset
.LBB0_22:
	s_endpgm
	.section	.rodata,"a",@progbits
	.p2align	6, 0x0
	.amdhsa_kernel _ZN9rocsparseL18dotci_kernel_part1ILj256Ei21rocsparse_complex_numIfES2_S2_EEvT0_PKT1_PKS3_PKT2_PT3_21rocsparse_index_base_
		.amdhsa_group_segment_fixed_size 2048
		.amdhsa_private_segment_fixed_size 0
		.amdhsa_kernarg_size 304
		.amdhsa_user_sgpr_count 2
		.amdhsa_user_sgpr_dispatch_ptr 0
		.amdhsa_user_sgpr_queue_ptr 0
		.amdhsa_user_sgpr_kernarg_segment_ptr 1
		.amdhsa_user_sgpr_dispatch_id 0
		.amdhsa_user_sgpr_kernarg_preload_length 0
		.amdhsa_user_sgpr_kernarg_preload_offset 0
		.amdhsa_user_sgpr_private_segment_size 0
		.amdhsa_wavefront_size32 1
		.amdhsa_uses_dynamic_stack 0
		.amdhsa_enable_private_segment 0
		.amdhsa_system_sgpr_workgroup_id_x 1
		.amdhsa_system_sgpr_workgroup_id_y 0
		.amdhsa_system_sgpr_workgroup_id_z 0
		.amdhsa_system_sgpr_workgroup_info 0
		.amdhsa_system_vgpr_workitem_id 0
		.amdhsa_next_free_vgpr 8
		.amdhsa_next_free_sgpr 16
		.amdhsa_named_barrier_count 0
		.amdhsa_reserve_vcc 1
		.amdhsa_float_round_mode_32 0
		.amdhsa_float_round_mode_16_64 0
		.amdhsa_float_denorm_mode_32 3
		.amdhsa_float_denorm_mode_16_64 3
		.amdhsa_fp16_overflow 0
		.amdhsa_memory_ordered 1
		.amdhsa_forward_progress 1
		.amdhsa_inst_pref_size 7
		.amdhsa_round_robin_scheduling 0
		.amdhsa_exception_fp_ieee_invalid_op 0
		.amdhsa_exception_fp_denorm_src 0
		.amdhsa_exception_fp_ieee_div_zero 0
		.amdhsa_exception_fp_ieee_overflow 0
		.amdhsa_exception_fp_ieee_underflow 0
		.amdhsa_exception_fp_ieee_inexact 0
		.amdhsa_exception_int_div_zero 0
	.end_amdhsa_kernel
	.section	.text._ZN9rocsparseL18dotci_kernel_part1ILj256Ei21rocsparse_complex_numIfES2_S2_EEvT0_PKT1_PKS3_PKT2_PT3_21rocsparse_index_base_,"axG",@progbits,_ZN9rocsparseL18dotci_kernel_part1ILj256Ei21rocsparse_complex_numIfES2_S2_EEvT0_PKT1_PKS3_PKT2_PT3_21rocsparse_index_base_,comdat
.Lfunc_end0:
	.size	_ZN9rocsparseL18dotci_kernel_part1ILj256Ei21rocsparse_complex_numIfES2_S2_EEvT0_PKT1_PKS3_PKT2_PT3_21rocsparse_index_base_, .Lfunc_end0-_ZN9rocsparseL18dotci_kernel_part1ILj256Ei21rocsparse_complex_numIfES2_S2_EEvT0_PKT1_PKS3_PKT2_PT3_21rocsparse_index_base_
                                        ; -- End function
	.set _ZN9rocsparseL18dotci_kernel_part1ILj256Ei21rocsparse_complex_numIfES2_S2_EEvT0_PKT1_PKS3_PKT2_PT3_21rocsparse_index_base_.num_vgpr, 8
	.set _ZN9rocsparseL18dotci_kernel_part1ILj256Ei21rocsparse_complex_numIfES2_S2_EEvT0_PKT1_PKS3_PKT2_PT3_21rocsparse_index_base_.num_agpr, 0
	.set _ZN9rocsparseL18dotci_kernel_part1ILj256Ei21rocsparse_complex_numIfES2_S2_EEvT0_PKT1_PKS3_PKT2_PT3_21rocsparse_index_base_.numbered_sgpr, 16
	.set _ZN9rocsparseL18dotci_kernel_part1ILj256Ei21rocsparse_complex_numIfES2_S2_EEvT0_PKT1_PKS3_PKT2_PT3_21rocsparse_index_base_.num_named_barrier, 0
	.set _ZN9rocsparseL18dotci_kernel_part1ILj256Ei21rocsparse_complex_numIfES2_S2_EEvT0_PKT1_PKS3_PKT2_PT3_21rocsparse_index_base_.private_seg_size, 0
	.set _ZN9rocsparseL18dotci_kernel_part1ILj256Ei21rocsparse_complex_numIfES2_S2_EEvT0_PKT1_PKS3_PKT2_PT3_21rocsparse_index_base_.uses_vcc, 1
	.set _ZN9rocsparseL18dotci_kernel_part1ILj256Ei21rocsparse_complex_numIfES2_S2_EEvT0_PKT1_PKS3_PKT2_PT3_21rocsparse_index_base_.uses_flat_scratch, 0
	.set _ZN9rocsparseL18dotci_kernel_part1ILj256Ei21rocsparse_complex_numIfES2_S2_EEvT0_PKT1_PKS3_PKT2_PT3_21rocsparse_index_base_.has_dyn_sized_stack, 0
	.set _ZN9rocsparseL18dotci_kernel_part1ILj256Ei21rocsparse_complex_numIfES2_S2_EEvT0_PKT1_PKS3_PKT2_PT3_21rocsparse_index_base_.has_recursion, 0
	.set _ZN9rocsparseL18dotci_kernel_part1ILj256Ei21rocsparse_complex_numIfES2_S2_EEvT0_PKT1_PKS3_PKT2_PT3_21rocsparse_index_base_.has_indirect_call, 0
	.section	.AMDGPU.csdata,"",@progbits
; Kernel info:
; codeLenInByte = 804
; TotalNumSgprs: 18
; NumVgprs: 8
; ScratchSize: 0
; MemoryBound: 0
; FloatMode: 240
; IeeeMode: 1
; LDSByteSize: 2048 bytes/workgroup (compile time only)
; SGPRBlocks: 0
; VGPRBlocks: 0
; NumSGPRsForWavesPerEU: 18
; NumVGPRsForWavesPerEU: 8
; NamedBarCnt: 0
; Occupancy: 16
; WaveLimiterHint : 1
; COMPUTE_PGM_RSRC2:SCRATCH_EN: 0
; COMPUTE_PGM_RSRC2:USER_SGPR: 2
; COMPUTE_PGM_RSRC2:TRAP_HANDLER: 0
; COMPUTE_PGM_RSRC2:TGID_X_EN: 1
; COMPUTE_PGM_RSRC2:TGID_Y_EN: 0
; COMPUTE_PGM_RSRC2:TGID_Z_EN: 0
; COMPUTE_PGM_RSRC2:TIDIG_COMP_CNT: 0
	.section	.text._ZN9rocsparseL18dotci_kernel_part2ILj256E21rocsparse_complex_numIfEEEvPT0_S4_,"axG",@progbits,_ZN9rocsparseL18dotci_kernel_part2ILj256E21rocsparse_complex_numIfEEEvPT0_S4_,comdat
	.globl	_ZN9rocsparseL18dotci_kernel_part2ILj256E21rocsparse_complex_numIfEEEvPT0_S4_ ; -- Begin function _ZN9rocsparseL18dotci_kernel_part2ILj256E21rocsparse_complex_numIfEEEvPT0_S4_
	.p2align	8
	.type	_ZN9rocsparseL18dotci_kernel_part2ILj256E21rocsparse_complex_numIfEEEvPT0_S4_,@function
_ZN9rocsparseL18dotci_kernel_part2ILj256E21rocsparse_complex_numIfEEEvPT0_S4_: ; @_ZN9rocsparseL18dotci_kernel_part2ILj256E21rocsparse_complex_numIfEEEvPT0_S4_
; %bb.0:
	s_load_b128 s[0:3], s[0:1], 0x0
	v_lshlrev_b32_e32 v1, 3, v0
	s_mov_b32 s4, exec_lo
	s_wait_kmcnt 0x0
	global_load_b64 v[2:3], v0, s[0:1] scale_offset
	s_wait_loadcnt 0x0
	ds_store_b64 v1, v[2:3]
	s_wait_dscnt 0x0
	s_barrier_signal -1
	s_barrier_wait -1
	v_cmpx_gt_u32_e32 0x80, v0
	s_cbranch_execz .LBB1_2
; %bb.1:
	ds_load_2addr_stride64_b64 v[2:5], v1 offset1:2
	s_wait_dscnt 0x0
	v_pk_add_f32 v[2:3], v[4:5], v[2:3]
	ds_store_b64 v1, v[2:3]
.LBB1_2:
	s_or_b32 exec_lo, exec_lo, s4
	s_delay_alu instid0(SALU_CYCLE_1)
	s_mov_b32 s4, exec_lo
	s_wait_dscnt 0x0
	s_barrier_signal -1
	s_barrier_wait -1
	v_cmpx_gt_u32_e32 64, v0
	s_cbranch_execz .LBB1_4
; %bb.3:
	ds_load_2addr_stride64_b64 v[2:5], v1 offset1:1
	s_wait_dscnt 0x0
	v_pk_add_f32 v[2:3], v[4:5], v[2:3]
	ds_store_b64 v1, v[2:3]
.LBB1_4:
	s_or_b32 exec_lo, exec_lo, s4
	s_delay_alu instid0(SALU_CYCLE_1)
	s_mov_b32 s4, exec_lo
	s_wait_dscnt 0x0
	s_barrier_signal -1
	s_barrier_wait -1
	v_cmpx_gt_u32_e32 32, v0
	s_cbranch_execz .LBB1_6
; %bb.5:
	ds_load_2addr_b64 v[2:5], v1 offset1:32
	s_wait_dscnt 0x0
	v_pk_add_f32 v[2:3], v[4:5], v[2:3]
	ds_store_b64 v1, v[2:3]
.LBB1_6:
	s_or_b32 exec_lo, exec_lo, s4
	s_delay_alu instid0(SALU_CYCLE_1)
	s_mov_b32 s4, exec_lo
	s_wait_dscnt 0x0
	s_barrier_signal -1
	s_barrier_wait -1
	v_cmpx_gt_u32_e32 16, v0
	s_cbranch_execz .LBB1_8
; %bb.7:
	ds_load_2addr_b64 v[2:5], v1 offset1:16
	s_wait_dscnt 0x0
	v_pk_add_f32 v[2:3], v[4:5], v[2:3]
	ds_store_b64 v1, v[2:3]
.LBB1_8:
	;; [unrolled: 14-line block ×5, first 2 shown]
	s_or_b32 exec_lo, exec_lo, s4
	v_cmp_eq_u32_e32 vcc_lo, 0, v0
	s_wait_dscnt 0x0
	s_barrier_signal -1
	s_barrier_wait -1
	s_and_saveexec_b32 s4, vcc_lo
	s_cbranch_execz .LBB1_16
; %bb.15:
	v_mov_b32_e32 v4, 0
	ds_load_2addr_b64 v[0:3], v4 offset1:1
	s_wait_dscnt 0x0
	v_pk_add_f32 v[0:1], v[2:3], v[0:1]
	ds_store_b64 v4, v[0:1]
.LBB1_16:
	s_or_b32 exec_lo, exec_lo, s4
	s_wait_dscnt 0x0
	s_barrier_signal -1
	s_barrier_wait -1
	s_and_saveexec_b32 s4, vcc_lo
	s_cbranch_execz .LBB1_18
; %bb.17:
	v_mov_b32_e32 v2, 0
	s_cmp_eq_u64 s[2:3], 0
	s_cselect_b32 s1, s1, s3
	s_cselect_b32 s0, s0, s2
	ds_load_b64 v[0:1], v2
	s_wait_dscnt 0x0
	global_store_b64 v2, v[0:1], s[0:1]
.LBB1_18:
	s_endpgm
	.section	.rodata,"a",@progbits
	.p2align	6, 0x0
	.amdhsa_kernel _ZN9rocsparseL18dotci_kernel_part2ILj256E21rocsparse_complex_numIfEEEvPT0_S4_
		.amdhsa_group_segment_fixed_size 2048
		.amdhsa_private_segment_fixed_size 0
		.amdhsa_kernarg_size 16
		.amdhsa_user_sgpr_count 2
		.amdhsa_user_sgpr_dispatch_ptr 0
		.amdhsa_user_sgpr_queue_ptr 0
		.amdhsa_user_sgpr_kernarg_segment_ptr 1
		.amdhsa_user_sgpr_dispatch_id 0
		.amdhsa_user_sgpr_kernarg_preload_length 0
		.amdhsa_user_sgpr_kernarg_preload_offset 0
		.amdhsa_user_sgpr_private_segment_size 0
		.amdhsa_wavefront_size32 1
		.amdhsa_uses_dynamic_stack 0
		.amdhsa_enable_private_segment 0
		.amdhsa_system_sgpr_workgroup_id_x 1
		.amdhsa_system_sgpr_workgroup_id_y 0
		.amdhsa_system_sgpr_workgroup_id_z 0
		.amdhsa_system_sgpr_workgroup_info 0
		.amdhsa_system_vgpr_workitem_id 0
		.amdhsa_next_free_vgpr 6
		.amdhsa_next_free_sgpr 5
		.amdhsa_named_barrier_count 0
		.amdhsa_reserve_vcc 1
		.amdhsa_float_round_mode_32 0
		.amdhsa_float_round_mode_16_64 0
		.amdhsa_float_denorm_mode_32 3
		.amdhsa_float_denorm_mode_16_64 3
		.amdhsa_fp16_overflow 0
		.amdhsa_memory_ordered 1
		.amdhsa_forward_progress 1
		.amdhsa_inst_pref_size 5
		.amdhsa_round_robin_scheduling 0
		.amdhsa_exception_fp_ieee_invalid_op 0
		.amdhsa_exception_fp_denorm_src 0
		.amdhsa_exception_fp_ieee_div_zero 0
		.amdhsa_exception_fp_ieee_overflow 0
		.amdhsa_exception_fp_ieee_underflow 0
		.amdhsa_exception_fp_ieee_inexact 0
		.amdhsa_exception_int_div_zero 0
	.end_amdhsa_kernel
	.section	.text._ZN9rocsparseL18dotci_kernel_part2ILj256E21rocsparse_complex_numIfEEEvPT0_S4_,"axG",@progbits,_ZN9rocsparseL18dotci_kernel_part2ILj256E21rocsparse_complex_numIfEEEvPT0_S4_,comdat
.Lfunc_end1:
	.size	_ZN9rocsparseL18dotci_kernel_part2ILj256E21rocsparse_complex_numIfEEEvPT0_S4_, .Lfunc_end1-_ZN9rocsparseL18dotci_kernel_part2ILj256E21rocsparse_complex_numIfEEEvPT0_S4_
                                        ; -- End function
	.set _ZN9rocsparseL18dotci_kernel_part2ILj256E21rocsparse_complex_numIfEEEvPT0_S4_.num_vgpr, 6
	.set _ZN9rocsparseL18dotci_kernel_part2ILj256E21rocsparse_complex_numIfEEEvPT0_S4_.num_agpr, 0
	.set _ZN9rocsparseL18dotci_kernel_part2ILj256E21rocsparse_complex_numIfEEEvPT0_S4_.numbered_sgpr, 5
	.set _ZN9rocsparseL18dotci_kernel_part2ILj256E21rocsparse_complex_numIfEEEvPT0_S4_.num_named_barrier, 0
	.set _ZN9rocsparseL18dotci_kernel_part2ILj256E21rocsparse_complex_numIfEEEvPT0_S4_.private_seg_size, 0
	.set _ZN9rocsparseL18dotci_kernel_part2ILj256E21rocsparse_complex_numIfEEEvPT0_S4_.uses_vcc, 1
	.set _ZN9rocsparseL18dotci_kernel_part2ILj256E21rocsparse_complex_numIfEEEvPT0_S4_.uses_flat_scratch, 0
	.set _ZN9rocsparseL18dotci_kernel_part2ILj256E21rocsparse_complex_numIfEEEvPT0_S4_.has_dyn_sized_stack, 0
	.set _ZN9rocsparseL18dotci_kernel_part2ILj256E21rocsparse_complex_numIfEEEvPT0_S4_.has_recursion, 0
	.set _ZN9rocsparseL18dotci_kernel_part2ILj256E21rocsparse_complex_numIfEEEvPT0_S4_.has_indirect_call, 0
	.section	.AMDGPU.csdata,"",@progbits
; Kernel info:
; codeLenInByte = 584
; TotalNumSgprs: 7
; NumVgprs: 6
; ScratchSize: 0
; MemoryBound: 0
; FloatMode: 240
; IeeeMode: 1
; LDSByteSize: 2048 bytes/workgroup (compile time only)
; SGPRBlocks: 0
; VGPRBlocks: 0
; NumSGPRsForWavesPerEU: 7
; NumVGPRsForWavesPerEU: 6
; NamedBarCnt: 0
; Occupancy: 16
; WaveLimiterHint : 0
; COMPUTE_PGM_RSRC2:SCRATCH_EN: 0
; COMPUTE_PGM_RSRC2:USER_SGPR: 2
; COMPUTE_PGM_RSRC2:TRAP_HANDLER: 0
; COMPUTE_PGM_RSRC2:TGID_X_EN: 1
; COMPUTE_PGM_RSRC2:TGID_Y_EN: 0
; COMPUTE_PGM_RSRC2:TGID_Z_EN: 0
; COMPUTE_PGM_RSRC2:TIDIG_COMP_CNT: 0
	.section	.text._ZN9rocsparseL18dotci_kernel_part1ILj256El21rocsparse_complex_numIfES2_S2_EEvT0_PKT1_PKS3_PKT2_PT3_21rocsparse_index_base_,"axG",@progbits,_ZN9rocsparseL18dotci_kernel_part1ILj256El21rocsparse_complex_numIfES2_S2_EEvT0_PKT1_PKS3_PKT2_PT3_21rocsparse_index_base_,comdat
	.globl	_ZN9rocsparseL18dotci_kernel_part1ILj256El21rocsparse_complex_numIfES2_S2_EEvT0_PKT1_PKS3_PKT2_PT3_21rocsparse_index_base_ ; -- Begin function _ZN9rocsparseL18dotci_kernel_part1ILj256El21rocsparse_complex_numIfES2_S2_EEvT0_PKT1_PKS3_PKT2_PT3_21rocsparse_index_base_
	.p2align	8
	.type	_ZN9rocsparseL18dotci_kernel_part1ILj256El21rocsparse_complex_numIfES2_S2_EEvT0_PKT1_PKS3_PKT2_PT3_21rocsparse_index_base_,@function
_ZN9rocsparseL18dotci_kernel_part1ILj256El21rocsparse_complex_numIfES2_S2_EEvT0_PKT1_PKS3_PKT2_PT3_21rocsparse_index_base_: ; @_ZN9rocsparseL18dotci_kernel_part1ILj256El21rocsparse_complex_numIfES2_S2_EEvT0_PKT1_PKS3_PKT2_PT3_21rocsparse_index_base_
; %bb.0:
	s_clause 0x1
	s_load_b256 s[4:11], s[0:1], 0x0
	s_load_b64 s[2:3], s[0:1], 0x20
	s_bfe_u32 s12, ttmp6, 0x4000c
	s_and_b32 s13, ttmp6, 15
	s_add_co_i32 s12, s12, 1
	s_getreg_b32 s14, hwreg(HW_REG_IB_STS2, 6, 4)
	s_mul_i32 s12, ttmp9, s12
	v_mov_b32_e32 v3, 0
	s_add_co_i32 s13, s13, s12
	s_cmp_eq_u32 s14, 0
	s_mov_b32 s17, exec_lo
	s_cselect_b32 s16, ttmp9, s13
	v_dual_mov_b32 v5, v3 :: v_dual_mov_b32 v4, v3
	v_lshl_or_b32 v2, s16, 8, v0
	s_mov_b32 s13, 0
	s_wait_kmcnt 0x0
	s_delay_alu instid0(VALU_DEP_1)
	v_cmpx_gt_i64_e64 s[4:5], v[2:3]
	s_cbranch_execz .LBB2_4
; %bb.1:
	s_clause 0x1
	s_load_b32 s14, s[0:1], 0x30
	s_load_b32 s12, s[0:1], 0x28
	v_mov_b32_e32 v4, 0
	v_lshlrev_b64_e32 v[6:7], 3, v[2:3]
	s_wait_xcnt 0x0
	s_mov_b32 s1, s13
	s_mov_b32 s18, s13
	v_mov_b32_e32 v5, v4
	s_wait_kmcnt 0x0
	s_lshl_b32 s0, s14, 8
	s_delay_alu instid0(SALU_CYCLE_1)
	s_lshl_b64 s[14:15], s[0:1], 3
.LBB2_2:                                ; =>This Inner Loop Header: Depth=1
	v_add_nc_u64_e32 v[8:9], s[8:9], v[6:7]
	v_add_nc_u64_e32 v[10:11], s[6:7], v[6:7]
	;; [unrolled: 1-line block ×4, first 2 shown]
	global_load_b64 v[8:9], v[8:9], off
	v_cmp_le_i64_e32 vcc_lo, s[4:5], v[2:3]
	s_or_b32 s18, vcc_lo, s18
	s_wait_loadcnt 0x0
	v_sub_nc_u64_e64 v[8:9], v[8:9], s[12:13]
	s_delay_alu instid0(VALU_DEP_1) | instskip(SKIP_4) | instid1(VALU_DEP_1)
	v_lshl_add_u64 v[8:9], v[8:9], 3, s[10:11]
	global_load_b64 v[12:13], v[10:11], off
	global_load_b64 v[14:15], v[8:9], off
	s_wait_loadcnt 0x0
	v_pk_fma_f32 v[4:5], v[14:15], v[12:13], v[4:5] op_sel_hi:[1,0,1]
	v_pk_fma_f32 v[4:5], v[14:15], v[12:13], v[4:5] op_sel:[1,1,0] op_sel_hi:[0,1,1] neg_hi:[0,1,0]
	s_and_not1_b32 exec_lo, exec_lo, s18
	s_cbranch_execnz .LBB2_2
; %bb.3:
	s_or_b32 exec_lo, exec_lo, s18
.LBB2_4:
	s_delay_alu instid0(SALU_CYCLE_1)
	s_or_b32 exec_lo, exec_lo, s17
	v_lshlrev_b32_e32 v1, 3, v0
	s_mov_b32 s0, exec_lo
	ds_store_b64 v1, v[4:5]
	s_wait_dscnt 0x0
	s_barrier_signal -1
	s_barrier_wait -1
	v_cmpx_gt_u32_e32 0x80, v0
	s_cbranch_execz .LBB2_6
; %bb.5:
	ds_load_2addr_stride64_b64 v[2:5], v1 offset1:2
	s_wait_dscnt 0x0
	v_pk_add_f32 v[2:3], v[4:5], v[2:3]
	ds_store_b64 v1, v[2:3]
.LBB2_6:
	s_or_b32 exec_lo, exec_lo, s0
	s_delay_alu instid0(SALU_CYCLE_1)
	s_mov_b32 s0, exec_lo
	s_wait_dscnt 0x0
	s_barrier_signal -1
	s_barrier_wait -1
	v_cmpx_gt_u32_e32 64, v0
	s_cbranch_execz .LBB2_8
; %bb.7:
	ds_load_2addr_stride64_b64 v[2:5], v1 offset1:1
	s_wait_dscnt 0x0
	v_pk_add_f32 v[2:3], v[4:5], v[2:3]
	ds_store_b64 v1, v[2:3]
.LBB2_8:
	s_or_b32 exec_lo, exec_lo, s0
	s_delay_alu instid0(SALU_CYCLE_1)
	s_mov_b32 s0, exec_lo
	s_wait_dscnt 0x0
	s_barrier_signal -1
	s_barrier_wait -1
	v_cmpx_gt_u32_e32 32, v0
	s_cbranch_execz .LBB2_10
; %bb.9:
	ds_load_2addr_b64 v[2:5], v1 offset1:32
	s_wait_dscnt 0x0
	v_pk_add_f32 v[2:3], v[4:5], v[2:3]
	ds_store_b64 v1, v[2:3]
.LBB2_10:
	s_or_b32 exec_lo, exec_lo, s0
	s_delay_alu instid0(SALU_CYCLE_1)
	s_mov_b32 s0, exec_lo
	s_wait_dscnt 0x0
	s_barrier_signal -1
	s_barrier_wait -1
	v_cmpx_gt_u32_e32 16, v0
	s_cbranch_execz .LBB2_12
; %bb.11:
	ds_load_2addr_b64 v[2:5], v1 offset1:16
	s_wait_dscnt 0x0
	v_pk_add_f32 v[2:3], v[4:5], v[2:3]
	ds_store_b64 v1, v[2:3]
.LBB2_12:
	;; [unrolled: 14-line block ×5, first 2 shown]
	s_or_b32 exec_lo, exec_lo, s0
	v_cmp_eq_u32_e32 vcc_lo, 0, v0
	s_wait_dscnt 0x0
	s_barrier_signal -1
	s_barrier_wait -1
	s_and_saveexec_b32 s0, vcc_lo
	s_cbranch_execz .LBB2_20
; %bb.19:
	v_mov_b32_e32 v4, 0
	ds_load_2addr_b64 v[0:3], v4 offset1:1
	s_wait_dscnt 0x0
	v_pk_add_f32 v[0:1], v[2:3], v[0:1]
	ds_store_b64 v4, v[0:1]
.LBB2_20:
	s_or_b32 exec_lo, exec_lo, s0
	s_wait_dscnt 0x0
	s_barrier_signal -1
	s_barrier_wait -1
	s_and_saveexec_b32 s0, vcc_lo
	s_cbranch_execz .LBB2_22
; %bb.21:
	v_dual_mov_b32 v0, 0 :: v_dual_mov_b32 v2, s16
	ds_load_b64 v[0:1], v0
	s_wait_dscnt 0x0
	global_store_b64 v2, v[0:1], s[2:3] scale_offset
.LBB2_22:
	s_endpgm
	.section	.rodata,"a",@progbits
	.p2align	6, 0x0
	.amdhsa_kernel _ZN9rocsparseL18dotci_kernel_part1ILj256El21rocsparse_complex_numIfES2_S2_EEvT0_PKT1_PKS3_PKT2_PT3_21rocsparse_index_base_
		.amdhsa_group_segment_fixed_size 2048
		.amdhsa_private_segment_fixed_size 0
		.amdhsa_kernarg_size 304
		.amdhsa_user_sgpr_count 2
		.amdhsa_user_sgpr_dispatch_ptr 0
		.amdhsa_user_sgpr_queue_ptr 0
		.amdhsa_user_sgpr_kernarg_segment_ptr 1
		.amdhsa_user_sgpr_dispatch_id 0
		.amdhsa_user_sgpr_kernarg_preload_length 0
		.amdhsa_user_sgpr_kernarg_preload_offset 0
		.amdhsa_user_sgpr_private_segment_size 0
		.amdhsa_wavefront_size32 1
		.amdhsa_uses_dynamic_stack 0
		.amdhsa_enable_private_segment 0
		.amdhsa_system_sgpr_workgroup_id_x 1
		.amdhsa_system_sgpr_workgroup_id_y 0
		.amdhsa_system_sgpr_workgroup_id_z 0
		.amdhsa_system_sgpr_workgroup_info 0
		.amdhsa_system_vgpr_workitem_id 0
		.amdhsa_next_free_vgpr 16
		.amdhsa_next_free_sgpr 19
		.amdhsa_named_barrier_count 0
		.amdhsa_reserve_vcc 1
		.amdhsa_float_round_mode_32 0
		.amdhsa_float_round_mode_16_64 0
		.amdhsa_float_denorm_mode_32 3
		.amdhsa_float_denorm_mode_16_64 3
		.amdhsa_fp16_overflow 0
		.amdhsa_memory_ordered 1
		.amdhsa_forward_progress 1
		.amdhsa_inst_pref_size 7
		.amdhsa_round_robin_scheduling 0
		.amdhsa_exception_fp_ieee_invalid_op 0
		.amdhsa_exception_fp_denorm_src 0
		.amdhsa_exception_fp_ieee_div_zero 0
		.amdhsa_exception_fp_ieee_overflow 0
		.amdhsa_exception_fp_ieee_underflow 0
		.amdhsa_exception_fp_ieee_inexact 0
		.amdhsa_exception_int_div_zero 0
	.end_amdhsa_kernel
	.section	.text._ZN9rocsparseL18dotci_kernel_part1ILj256El21rocsparse_complex_numIfES2_S2_EEvT0_PKT1_PKS3_PKT2_PT3_21rocsparse_index_base_,"axG",@progbits,_ZN9rocsparseL18dotci_kernel_part1ILj256El21rocsparse_complex_numIfES2_S2_EEvT0_PKT1_PKS3_PKT2_PT3_21rocsparse_index_base_,comdat
.Lfunc_end2:
	.size	_ZN9rocsparseL18dotci_kernel_part1ILj256El21rocsparse_complex_numIfES2_S2_EEvT0_PKT1_PKS3_PKT2_PT3_21rocsparse_index_base_, .Lfunc_end2-_ZN9rocsparseL18dotci_kernel_part1ILj256El21rocsparse_complex_numIfES2_S2_EEvT0_PKT1_PKS3_PKT2_PT3_21rocsparse_index_base_
                                        ; -- End function
	.set _ZN9rocsparseL18dotci_kernel_part1ILj256El21rocsparse_complex_numIfES2_S2_EEvT0_PKT1_PKS3_PKT2_PT3_21rocsparse_index_base_.num_vgpr, 16
	.set _ZN9rocsparseL18dotci_kernel_part1ILj256El21rocsparse_complex_numIfES2_S2_EEvT0_PKT1_PKS3_PKT2_PT3_21rocsparse_index_base_.num_agpr, 0
	.set _ZN9rocsparseL18dotci_kernel_part1ILj256El21rocsparse_complex_numIfES2_S2_EEvT0_PKT1_PKS3_PKT2_PT3_21rocsparse_index_base_.numbered_sgpr, 19
	.set _ZN9rocsparseL18dotci_kernel_part1ILj256El21rocsparse_complex_numIfES2_S2_EEvT0_PKT1_PKS3_PKT2_PT3_21rocsparse_index_base_.num_named_barrier, 0
	.set _ZN9rocsparseL18dotci_kernel_part1ILj256El21rocsparse_complex_numIfES2_S2_EEvT0_PKT1_PKS3_PKT2_PT3_21rocsparse_index_base_.private_seg_size, 0
	.set _ZN9rocsparseL18dotci_kernel_part1ILj256El21rocsparse_complex_numIfES2_S2_EEvT0_PKT1_PKS3_PKT2_PT3_21rocsparse_index_base_.uses_vcc, 1
	.set _ZN9rocsparseL18dotci_kernel_part1ILj256El21rocsparse_complex_numIfES2_S2_EEvT0_PKT1_PKS3_PKT2_PT3_21rocsparse_index_base_.uses_flat_scratch, 0
	.set _ZN9rocsparseL18dotci_kernel_part1ILj256El21rocsparse_complex_numIfES2_S2_EEvT0_PKT1_PKS3_PKT2_PT3_21rocsparse_index_base_.has_dyn_sized_stack, 0
	.set _ZN9rocsparseL18dotci_kernel_part1ILj256El21rocsparse_complex_numIfES2_S2_EEvT0_PKT1_PKS3_PKT2_PT3_21rocsparse_index_base_.has_recursion, 0
	.set _ZN9rocsparseL18dotci_kernel_part1ILj256El21rocsparse_complex_numIfES2_S2_EEvT0_PKT1_PKS3_PKT2_PT3_21rocsparse_index_base_.has_indirect_call, 0
	.section	.AMDGPU.csdata,"",@progbits
; Kernel info:
; codeLenInByte = 840
; TotalNumSgprs: 21
; NumVgprs: 16
; ScratchSize: 0
; MemoryBound: 0
; FloatMode: 240
; IeeeMode: 1
; LDSByteSize: 2048 bytes/workgroup (compile time only)
; SGPRBlocks: 0
; VGPRBlocks: 0
; NumSGPRsForWavesPerEU: 21
; NumVGPRsForWavesPerEU: 16
; NamedBarCnt: 0
; Occupancy: 16
; WaveLimiterHint : 1
; COMPUTE_PGM_RSRC2:SCRATCH_EN: 0
; COMPUTE_PGM_RSRC2:USER_SGPR: 2
; COMPUTE_PGM_RSRC2:TRAP_HANDLER: 0
; COMPUTE_PGM_RSRC2:TGID_X_EN: 1
; COMPUTE_PGM_RSRC2:TGID_Y_EN: 0
; COMPUTE_PGM_RSRC2:TGID_Z_EN: 0
; COMPUTE_PGM_RSRC2:TIDIG_COMP_CNT: 0
	.section	.text._ZN9rocsparseL18dotci_kernel_part1ILj256Ei21rocsparse_complex_numIdES2_S2_EEvT0_PKT1_PKS3_PKT2_PT3_21rocsparse_index_base_,"axG",@progbits,_ZN9rocsparseL18dotci_kernel_part1ILj256Ei21rocsparse_complex_numIdES2_S2_EEvT0_PKT1_PKS3_PKT2_PT3_21rocsparse_index_base_,comdat
	.globl	_ZN9rocsparseL18dotci_kernel_part1ILj256Ei21rocsparse_complex_numIdES2_S2_EEvT0_PKT1_PKS3_PKT2_PT3_21rocsparse_index_base_ ; -- Begin function _ZN9rocsparseL18dotci_kernel_part1ILj256Ei21rocsparse_complex_numIdES2_S2_EEvT0_PKT1_PKS3_PKT2_PT3_21rocsparse_index_base_
	.p2align	8
	.type	_ZN9rocsparseL18dotci_kernel_part1ILj256Ei21rocsparse_complex_numIdES2_S2_EEvT0_PKT1_PKS3_PKT2_PT3_21rocsparse_index_base_,@function
_ZN9rocsparseL18dotci_kernel_part1ILj256Ei21rocsparse_complex_numIdES2_S2_EEvT0_PKT1_PKS3_PKT2_PT3_21rocsparse_index_base_: ; @_ZN9rocsparseL18dotci_kernel_part1ILj256Ei21rocsparse_complex_numIdES2_S2_EEvT0_PKT1_PKS3_PKT2_PT3_21rocsparse_index_base_
; %bb.0:
	s_clause 0x1
	s_load_b32 s3, s[0:1], 0x0
	s_load_b256 s[4:11], s[0:1], 0x8
	s_bfe_u32 s2, ttmp6, 0x4000c
	v_mov_b64_e32 v[2:3], 0
	s_add_co_i32 s2, s2, 1
	s_and_b32 s12, ttmp6, 15
	s_mul_i32 s2, ttmp9, s2
	s_getreg_b32 s13, hwreg(HW_REG_IB_STS2, 6, 4)
	s_add_co_i32 s12, s12, s2
	s_cmp_eq_u32 s13, 0
	v_mov_b64_e32 v[4:5], v[2:3]
	s_cselect_b32 s2, ttmp9, s12
	s_mov_b32 s13, 0
	v_lshl_or_b32 v1, s2, 8, v0
	s_mov_b32 s12, exec_lo
	s_wait_kmcnt 0x0
	s_delay_alu instid0(VALU_DEP_1)
	v_cmpx_gt_i32_e64 s3, v1
	s_cbranch_execz .LBB3_4
; %bb.1:
	s_clause 0x1
	s_load_b32 s15, s[0:1], 0x30
	s_load_b32 s14, s[0:1], 0x28
	v_mov_b64_e32 v[2:3], 0
	s_delay_alu instid0(VALU_DEP_1)
	v_mov_b64_e32 v[4:5], v[2:3]
	s_wait_kmcnt 0x0
	s_lshl_b32 s0, s15, 8
.LBB3_2:                                ; =>This Inner Loop Header: Depth=1
	s_clause 0x1
	global_load_b32 v10, v1, s[6:7] scale_offset
	global_load_b128 v[6:9], v1, s[4:5] scale_offset
	s_wait_xcnt 0x0
	v_add_nc_u32_e32 v1, s0, v1
	s_delay_alu instid0(VALU_DEP_1)
	v_cmp_le_i32_e32 vcc_lo, s3, v1
	s_or_b32 s13, vcc_lo, s13
	s_wait_loadcnt 0x1
	v_subrev_nc_u32_e32 v10, s14, v10
	global_load_b128 v[10:13], v10, s[8:9] scale_offset
	s_wait_loadcnt 0x0
	v_fmac_f64_e32 v[2:3], v[10:11], v[6:7]
	v_fmac_f64_e32 v[4:5], v[12:13], v[6:7]
	s_delay_alu instid0(VALU_DEP_2) | instskip(NEXT) | instid1(VALU_DEP_2)
	v_fmac_f64_e32 v[2:3], v[12:13], v[8:9]
	v_fma_f64 v[4:5], v[10:11], -v[8:9], v[4:5]
	s_and_not1_b32 exec_lo, exec_lo, s13
	s_cbranch_execnz .LBB3_2
; %bb.3:
	s_or_b32 exec_lo, exec_lo, s13
.LBB3_4:
	s_delay_alu instid0(SALU_CYCLE_1)
	s_or_b32 exec_lo, exec_lo, s12
	v_lshlrev_b32_e32 v1, 4, v0
	s_mov_b32 s0, exec_lo
	ds_store_b128 v1, v[2:5]
	s_wait_dscnt 0x0
	s_barrier_signal -1
	s_barrier_wait -1
	v_cmpx_gt_u32_e32 0x80, v0
	s_cbranch_execz .LBB3_6
; %bb.5:
	ds_load_b128 v[2:5], v1 offset:2048
	ds_load_b128 v[6:9], v1
	s_wait_dscnt 0x0
	v_add_f64_e32 v[2:3], v[2:3], v[6:7]
	v_add_f64_e32 v[4:5], v[4:5], v[8:9]
	ds_store_b128 v1, v[2:5]
.LBB3_6:
	s_or_b32 exec_lo, exec_lo, s0
	s_delay_alu instid0(SALU_CYCLE_1)
	s_mov_b32 s0, exec_lo
	s_wait_dscnt 0x0
	s_barrier_signal -1
	s_barrier_wait -1
	v_cmpx_gt_u32_e32 64, v0
	s_cbranch_execz .LBB3_8
; %bb.7:
	ds_load_b128 v[2:5], v1 offset:1024
	ds_load_b128 v[6:9], v1
	s_wait_dscnt 0x0
	v_add_f64_e32 v[2:3], v[2:3], v[6:7]
	v_add_f64_e32 v[4:5], v[4:5], v[8:9]
	ds_store_b128 v1, v[2:5]
.LBB3_8:
	s_or_b32 exec_lo, exec_lo, s0
	s_delay_alu instid0(SALU_CYCLE_1)
	s_mov_b32 s0, exec_lo
	;; [unrolled: 16-line block ×6, first 2 shown]
	s_wait_dscnt 0x0
	s_barrier_signal -1
	s_barrier_wait -1
	v_cmpx_gt_u32_e32 2, v0
	s_cbranch_execz .LBB3_18
; %bb.17:
	ds_load_b128 v[2:5], v1
	ds_load_b128 v[6:9], v1 offset:32
	s_wait_dscnt 0x0
	v_add_f64_e32 v[2:3], v[6:7], v[2:3]
	v_add_f64_e32 v[4:5], v[8:9], v[4:5]
	ds_store_b128 v1, v[2:5]
.LBB3_18:
	s_or_b32 exec_lo, exec_lo, s0
	v_cmp_eq_u32_e32 vcc_lo, 0, v0
	s_wait_dscnt 0x0
	s_barrier_signal -1
	s_barrier_wait -1
	s_and_saveexec_b32 s0, vcc_lo
	s_cbranch_execz .LBB3_20
; %bb.19:
	v_mov_b32_e32 v8, 0
	ds_load_b128 v[0:3], v8
	ds_load_b128 v[4:7], v8 offset:16
	s_wait_dscnt 0x0
	v_add_f64_e32 v[0:1], v[4:5], v[0:1]
	v_add_f64_e32 v[2:3], v[6:7], v[2:3]
	ds_store_b128 v8, v[0:3]
.LBB3_20:
	s_or_b32 exec_lo, exec_lo, s0
	s_wait_dscnt 0x0
	s_barrier_signal -1
	s_barrier_wait -1
	s_and_saveexec_b32 s0, vcc_lo
	s_cbranch_execz .LBB3_22
; %bb.21:
	v_dual_mov_b32 v0, 0 :: v_dual_mov_b32 v4, s2
	ds_load_b128 v[0:3], v0
	s_wait_dscnt 0x0
	global_store_b128 v4, v[0:3], s[10:11] scale_offset
.LBB3_22:
	s_endpgm
	.section	.rodata,"a",@progbits
	.p2align	6, 0x0
	.amdhsa_kernel _ZN9rocsparseL18dotci_kernel_part1ILj256Ei21rocsparse_complex_numIdES2_S2_EEvT0_PKT1_PKS3_PKT2_PT3_21rocsparse_index_base_
		.amdhsa_group_segment_fixed_size 4096
		.amdhsa_private_segment_fixed_size 0
		.amdhsa_kernarg_size 304
		.amdhsa_user_sgpr_count 2
		.amdhsa_user_sgpr_dispatch_ptr 0
		.amdhsa_user_sgpr_queue_ptr 0
		.amdhsa_user_sgpr_kernarg_segment_ptr 1
		.amdhsa_user_sgpr_dispatch_id 0
		.amdhsa_user_sgpr_kernarg_preload_length 0
		.amdhsa_user_sgpr_kernarg_preload_offset 0
		.amdhsa_user_sgpr_private_segment_size 0
		.amdhsa_wavefront_size32 1
		.amdhsa_uses_dynamic_stack 0
		.amdhsa_enable_private_segment 0
		.amdhsa_system_sgpr_workgroup_id_x 1
		.amdhsa_system_sgpr_workgroup_id_y 0
		.amdhsa_system_sgpr_workgroup_id_z 0
		.amdhsa_system_sgpr_workgroup_info 0
		.amdhsa_system_vgpr_workitem_id 0
		.amdhsa_next_free_vgpr 14
		.amdhsa_next_free_sgpr 16
		.amdhsa_named_barrier_count 0
		.amdhsa_reserve_vcc 1
		.amdhsa_float_round_mode_32 0
		.amdhsa_float_round_mode_16_64 0
		.amdhsa_float_denorm_mode_32 3
		.amdhsa_float_denorm_mode_16_64 3
		.amdhsa_fp16_overflow 0
		.amdhsa_memory_ordered 1
		.amdhsa_forward_progress 1
		.amdhsa_inst_pref_size 7
		.amdhsa_round_robin_scheduling 0
		.amdhsa_exception_fp_ieee_invalid_op 0
		.amdhsa_exception_fp_denorm_src 0
		.amdhsa_exception_fp_ieee_div_zero 0
		.amdhsa_exception_fp_ieee_overflow 0
		.amdhsa_exception_fp_ieee_underflow 0
		.amdhsa_exception_fp_ieee_inexact 0
		.amdhsa_exception_int_div_zero 0
	.end_amdhsa_kernel
	.section	.text._ZN9rocsparseL18dotci_kernel_part1ILj256Ei21rocsparse_complex_numIdES2_S2_EEvT0_PKT1_PKS3_PKT2_PT3_21rocsparse_index_base_,"axG",@progbits,_ZN9rocsparseL18dotci_kernel_part1ILj256Ei21rocsparse_complex_numIdES2_S2_EEvT0_PKT1_PKS3_PKT2_PT3_21rocsparse_index_base_,comdat
.Lfunc_end3:
	.size	_ZN9rocsparseL18dotci_kernel_part1ILj256Ei21rocsparse_complex_numIdES2_S2_EEvT0_PKT1_PKS3_PKT2_PT3_21rocsparse_index_base_, .Lfunc_end3-_ZN9rocsparseL18dotci_kernel_part1ILj256Ei21rocsparse_complex_numIdES2_S2_EEvT0_PKT1_PKS3_PKT2_PT3_21rocsparse_index_base_
                                        ; -- End function
	.set _ZN9rocsparseL18dotci_kernel_part1ILj256Ei21rocsparse_complex_numIdES2_S2_EEvT0_PKT1_PKS3_PKT2_PT3_21rocsparse_index_base_.num_vgpr, 14
	.set _ZN9rocsparseL18dotci_kernel_part1ILj256Ei21rocsparse_complex_numIdES2_S2_EEvT0_PKT1_PKS3_PKT2_PT3_21rocsparse_index_base_.num_agpr, 0
	.set _ZN9rocsparseL18dotci_kernel_part1ILj256Ei21rocsparse_complex_numIdES2_S2_EEvT0_PKT1_PKS3_PKT2_PT3_21rocsparse_index_base_.numbered_sgpr, 16
	.set _ZN9rocsparseL18dotci_kernel_part1ILj256Ei21rocsparse_complex_numIdES2_S2_EEvT0_PKT1_PKS3_PKT2_PT3_21rocsparse_index_base_.num_named_barrier, 0
	.set _ZN9rocsparseL18dotci_kernel_part1ILj256Ei21rocsparse_complex_numIdES2_S2_EEvT0_PKT1_PKS3_PKT2_PT3_21rocsparse_index_base_.private_seg_size, 0
	.set _ZN9rocsparseL18dotci_kernel_part1ILj256Ei21rocsparse_complex_numIdES2_S2_EEvT0_PKT1_PKS3_PKT2_PT3_21rocsparse_index_base_.uses_vcc, 1
	.set _ZN9rocsparseL18dotci_kernel_part1ILj256Ei21rocsparse_complex_numIdES2_S2_EEvT0_PKT1_PKS3_PKT2_PT3_21rocsparse_index_base_.uses_flat_scratch, 0
	.set _ZN9rocsparseL18dotci_kernel_part1ILj256Ei21rocsparse_complex_numIdES2_S2_EEvT0_PKT1_PKS3_PKT2_PT3_21rocsparse_index_base_.has_dyn_sized_stack, 0
	.set _ZN9rocsparseL18dotci_kernel_part1ILj256Ei21rocsparse_complex_numIdES2_S2_EEvT0_PKT1_PKS3_PKT2_PT3_21rocsparse_index_base_.has_recursion, 0
	.set _ZN9rocsparseL18dotci_kernel_part1ILj256Ei21rocsparse_complex_numIdES2_S2_EEvT0_PKT1_PKS3_PKT2_PT3_21rocsparse_index_base_.has_indirect_call, 0
	.section	.AMDGPU.csdata,"",@progbits
; Kernel info:
; codeLenInByte = 872
; TotalNumSgprs: 18
; NumVgprs: 14
; ScratchSize: 0
; MemoryBound: 0
; FloatMode: 240
; IeeeMode: 1
; LDSByteSize: 4096 bytes/workgroup (compile time only)
; SGPRBlocks: 0
; VGPRBlocks: 0
; NumSGPRsForWavesPerEU: 18
; NumVGPRsForWavesPerEU: 14
; NamedBarCnt: 0
; Occupancy: 16
; WaveLimiterHint : 1
; COMPUTE_PGM_RSRC2:SCRATCH_EN: 0
; COMPUTE_PGM_RSRC2:USER_SGPR: 2
; COMPUTE_PGM_RSRC2:TRAP_HANDLER: 0
; COMPUTE_PGM_RSRC2:TGID_X_EN: 1
; COMPUTE_PGM_RSRC2:TGID_Y_EN: 0
; COMPUTE_PGM_RSRC2:TGID_Z_EN: 0
; COMPUTE_PGM_RSRC2:TIDIG_COMP_CNT: 0
	.section	.text._ZN9rocsparseL18dotci_kernel_part2ILj256E21rocsparse_complex_numIdEEEvPT0_S4_,"axG",@progbits,_ZN9rocsparseL18dotci_kernel_part2ILj256E21rocsparse_complex_numIdEEEvPT0_S4_,comdat
	.globl	_ZN9rocsparseL18dotci_kernel_part2ILj256E21rocsparse_complex_numIdEEEvPT0_S4_ ; -- Begin function _ZN9rocsparseL18dotci_kernel_part2ILj256E21rocsparse_complex_numIdEEEvPT0_S4_
	.p2align	8
	.type	_ZN9rocsparseL18dotci_kernel_part2ILj256E21rocsparse_complex_numIdEEEvPT0_S4_,@function
_ZN9rocsparseL18dotci_kernel_part2ILj256E21rocsparse_complex_numIdEEEvPT0_S4_: ; @_ZN9rocsparseL18dotci_kernel_part2ILj256E21rocsparse_complex_numIdEEEvPT0_S4_
; %bb.0:
	s_load_b128 s[0:3], s[0:1], 0x0
	v_lshlrev_b32_e32 v1, 4, v0
	s_mov_b32 s4, exec_lo
	s_wait_kmcnt 0x0
	global_load_b128 v[2:5], v0, s[0:1] scale_offset
	s_wait_loadcnt 0x0
	ds_store_2addr_b64 v1, v[2:3], v[4:5] offset1:1
	s_wait_dscnt 0x0
	s_barrier_signal -1
	s_barrier_wait -1
	v_cmpx_gt_u32_e32 0x80, v0
	s_cbranch_execz .LBB4_2
; %bb.1:
	ds_load_b128 v[2:5], v1 offset:2048
	ds_load_b128 v[6:9], v1
	s_wait_dscnt 0x0
	v_add_f64_e32 v[2:3], v[2:3], v[6:7]
	v_add_f64_e32 v[4:5], v[4:5], v[8:9]
	ds_store_b128 v1, v[2:5]
.LBB4_2:
	s_or_b32 exec_lo, exec_lo, s4
	s_delay_alu instid0(SALU_CYCLE_1)
	s_mov_b32 s4, exec_lo
	s_wait_dscnt 0x0
	s_barrier_signal -1
	s_barrier_wait -1
	v_cmpx_gt_u32_e32 64, v0
	s_cbranch_execz .LBB4_4
; %bb.3:
	ds_load_b128 v[2:5], v1 offset:1024
	ds_load_b128 v[6:9], v1
	s_wait_dscnt 0x0
	v_add_f64_e32 v[2:3], v[2:3], v[6:7]
	v_add_f64_e32 v[4:5], v[4:5], v[8:9]
	ds_store_b128 v1, v[2:5]
.LBB4_4:
	s_or_b32 exec_lo, exec_lo, s4
	s_delay_alu instid0(SALU_CYCLE_1)
	s_mov_b32 s4, exec_lo
	;; [unrolled: 16-line block ×6, first 2 shown]
	s_wait_dscnt 0x0
	s_barrier_signal -1
	s_barrier_wait -1
	v_cmpx_gt_u32_e32 2, v0
	s_cbranch_execz .LBB4_14
; %bb.13:
	ds_load_b128 v[2:5], v1
	ds_load_b128 v[6:9], v1 offset:32
	s_wait_dscnt 0x0
	v_add_f64_e32 v[2:3], v[6:7], v[2:3]
	v_add_f64_e32 v[4:5], v[8:9], v[4:5]
	ds_store_b128 v1, v[2:5]
.LBB4_14:
	s_or_b32 exec_lo, exec_lo, s4
	v_cmp_eq_u32_e32 vcc_lo, 0, v0
	s_wait_dscnt 0x0
	s_barrier_signal -1
	s_barrier_wait -1
	s_and_saveexec_b32 s4, vcc_lo
	s_cbranch_execz .LBB4_16
; %bb.15:
	v_mov_b32_e32 v8, 0
	ds_load_b128 v[0:3], v8
	ds_load_b128 v[4:7], v8 offset:16
	s_wait_dscnt 0x0
	v_add_f64_e32 v[0:1], v[4:5], v[0:1]
	v_add_f64_e32 v[2:3], v[6:7], v[2:3]
	ds_store_b128 v8, v[0:3]
.LBB4_16:
	s_or_b32 exec_lo, exec_lo, s4
	s_wait_dscnt 0x0
	s_barrier_signal -1
	s_barrier_wait -1
	s_and_saveexec_b32 s4, vcc_lo
	s_cbranch_execz .LBB4_18
; %bb.17:
	v_mov_b32_e32 v4, 0
	s_cmp_eq_u64 s[2:3], 0
	s_cselect_b32 s1, s1, s3
	s_cselect_b32 s0, s0, s2
	ds_load_b128 v[0:3], v4
	s_wait_dscnt 0x0
	global_store_b128 v4, v[0:3], s[0:1]
.LBB4_18:
	s_endpgm
	.section	.rodata,"a",@progbits
	.p2align	6, 0x0
	.amdhsa_kernel _ZN9rocsparseL18dotci_kernel_part2ILj256E21rocsparse_complex_numIdEEEvPT0_S4_
		.amdhsa_group_segment_fixed_size 4096
		.amdhsa_private_segment_fixed_size 0
		.amdhsa_kernarg_size 16
		.amdhsa_user_sgpr_count 2
		.amdhsa_user_sgpr_dispatch_ptr 0
		.amdhsa_user_sgpr_queue_ptr 0
		.amdhsa_user_sgpr_kernarg_segment_ptr 1
		.amdhsa_user_sgpr_dispatch_id 0
		.amdhsa_user_sgpr_kernarg_preload_length 0
		.amdhsa_user_sgpr_kernarg_preload_offset 0
		.amdhsa_user_sgpr_private_segment_size 0
		.amdhsa_wavefront_size32 1
		.amdhsa_uses_dynamic_stack 0
		.amdhsa_enable_private_segment 0
		.amdhsa_system_sgpr_workgroup_id_x 1
		.amdhsa_system_sgpr_workgroup_id_y 0
		.amdhsa_system_sgpr_workgroup_id_z 0
		.amdhsa_system_sgpr_workgroup_info 0
		.amdhsa_system_vgpr_workitem_id 0
		.amdhsa_next_free_vgpr 10
		.amdhsa_next_free_sgpr 5
		.amdhsa_named_barrier_count 0
		.amdhsa_reserve_vcc 1
		.amdhsa_float_round_mode_32 0
		.amdhsa_float_round_mode_16_64 0
		.amdhsa_float_denorm_mode_32 3
		.amdhsa_float_denorm_mode_16_64 3
		.amdhsa_fp16_overflow 0
		.amdhsa_memory_ordered 1
		.amdhsa_forward_progress 1
		.amdhsa_inst_pref_size 6
		.amdhsa_round_robin_scheduling 0
		.amdhsa_exception_fp_ieee_invalid_op 0
		.amdhsa_exception_fp_denorm_src 0
		.amdhsa_exception_fp_ieee_div_zero 0
		.amdhsa_exception_fp_ieee_overflow 0
		.amdhsa_exception_fp_ieee_underflow 0
		.amdhsa_exception_fp_ieee_inexact 0
		.amdhsa_exception_int_div_zero 0
	.end_amdhsa_kernel
	.section	.text._ZN9rocsparseL18dotci_kernel_part2ILj256E21rocsparse_complex_numIdEEEvPT0_S4_,"axG",@progbits,_ZN9rocsparseL18dotci_kernel_part2ILj256E21rocsparse_complex_numIdEEEvPT0_S4_,comdat
.Lfunc_end4:
	.size	_ZN9rocsparseL18dotci_kernel_part2ILj256E21rocsparse_complex_numIdEEEvPT0_S4_, .Lfunc_end4-_ZN9rocsparseL18dotci_kernel_part2ILj256E21rocsparse_complex_numIdEEEvPT0_S4_
                                        ; -- End function
	.set _ZN9rocsparseL18dotci_kernel_part2ILj256E21rocsparse_complex_numIdEEEvPT0_S4_.num_vgpr, 10
	.set _ZN9rocsparseL18dotci_kernel_part2ILj256E21rocsparse_complex_numIdEEEvPT0_S4_.num_agpr, 0
	.set _ZN9rocsparseL18dotci_kernel_part2ILj256E21rocsparse_complex_numIdEEEvPT0_S4_.numbered_sgpr, 5
	.set _ZN9rocsparseL18dotci_kernel_part2ILj256E21rocsparse_complex_numIdEEEvPT0_S4_.num_named_barrier, 0
	.set _ZN9rocsparseL18dotci_kernel_part2ILj256E21rocsparse_complex_numIdEEEvPT0_S4_.private_seg_size, 0
	.set _ZN9rocsparseL18dotci_kernel_part2ILj256E21rocsparse_complex_numIdEEEvPT0_S4_.uses_vcc, 1
	.set _ZN9rocsparseL18dotci_kernel_part2ILj256E21rocsparse_complex_numIdEEEvPT0_S4_.uses_flat_scratch, 0
	.set _ZN9rocsparseL18dotci_kernel_part2ILj256E21rocsparse_complex_numIdEEEvPT0_S4_.has_dyn_sized_stack, 0
	.set _ZN9rocsparseL18dotci_kernel_part2ILj256E21rocsparse_complex_numIdEEEvPT0_S4_.has_recursion, 0
	.set _ZN9rocsparseL18dotci_kernel_part2ILj256E21rocsparse_complex_numIdEEEvPT0_S4_.has_indirect_call, 0
	.section	.AMDGPU.csdata,"",@progbits
; Kernel info:
; codeLenInByte = 648
; TotalNumSgprs: 7
; NumVgprs: 10
; ScratchSize: 0
; MemoryBound: 0
; FloatMode: 240
; IeeeMode: 1
; LDSByteSize: 4096 bytes/workgroup (compile time only)
; SGPRBlocks: 0
; VGPRBlocks: 0
; NumSGPRsForWavesPerEU: 7
; NumVGPRsForWavesPerEU: 10
; NamedBarCnt: 0
; Occupancy: 16
; WaveLimiterHint : 0
; COMPUTE_PGM_RSRC2:SCRATCH_EN: 0
; COMPUTE_PGM_RSRC2:USER_SGPR: 2
; COMPUTE_PGM_RSRC2:TRAP_HANDLER: 0
; COMPUTE_PGM_RSRC2:TGID_X_EN: 1
; COMPUTE_PGM_RSRC2:TGID_Y_EN: 0
; COMPUTE_PGM_RSRC2:TGID_Z_EN: 0
; COMPUTE_PGM_RSRC2:TIDIG_COMP_CNT: 0
	.section	.text._ZN9rocsparseL18dotci_kernel_part1ILj256El21rocsparse_complex_numIdES2_S2_EEvT0_PKT1_PKS3_PKT2_PT3_21rocsparse_index_base_,"axG",@progbits,_ZN9rocsparseL18dotci_kernel_part1ILj256El21rocsparse_complex_numIdES2_S2_EEvT0_PKT1_PKS3_PKT2_PT3_21rocsparse_index_base_,comdat
	.globl	_ZN9rocsparseL18dotci_kernel_part1ILj256El21rocsparse_complex_numIdES2_S2_EEvT0_PKT1_PKS3_PKT2_PT3_21rocsparse_index_base_ ; -- Begin function _ZN9rocsparseL18dotci_kernel_part1ILj256El21rocsparse_complex_numIdES2_S2_EEvT0_PKT1_PKS3_PKT2_PT3_21rocsparse_index_base_
	.p2align	8
	.type	_ZN9rocsparseL18dotci_kernel_part1ILj256El21rocsparse_complex_numIdES2_S2_EEvT0_PKT1_PKS3_PKT2_PT3_21rocsparse_index_base_,@function
_ZN9rocsparseL18dotci_kernel_part1ILj256El21rocsparse_complex_numIdES2_S2_EEvT0_PKT1_PKS3_PKT2_PT3_21rocsparse_index_base_: ; @_ZN9rocsparseL18dotci_kernel_part1ILj256El21rocsparse_complex_numIdES2_S2_EEvT0_PKT1_PKS3_PKT2_PT3_21rocsparse_index_base_
; %bb.0:
	s_clause 0x1
	s_load_b256 s[4:11], s[0:1], 0x0
	s_load_b64 s[2:3], s[0:1], 0x20
	s_bfe_u32 s12, ttmp6, 0x4000c
	v_mov_b64_e32 v[2:3], 0
	s_add_co_i32 s12, s12, 1
	s_and_b32 s13, ttmp6, 15
	s_mul_i32 s12, ttmp9, s12
	s_getreg_b32 s14, hwreg(HW_REG_IB_STS2, 6, 4)
	s_add_co_i32 s13, s13, s12
	s_cmp_eq_u32 s14, 0
	v_mov_b64_e32 v[4:5], v[2:3]
	s_cselect_b32 s14, ttmp9, s13
	v_mov_b32_e32 v7, 0
	v_lshl_or_b32 v6, s14, 8, v0
	s_mov_b32 s13, 0
	s_mov_b32 s15, exec_lo
	s_wait_kmcnt 0x0
	s_delay_alu instid0(VALU_DEP_1)
	v_cmpx_gt_i64_e64 s[4:5], v[6:7]
	s_cbranch_execz .LBB5_4
; %bb.1:
	s_clause 0x1
	s_load_b32 s16, s[0:1], 0x30
	s_load_b32 s12, s[0:1], 0x28
	v_mov_b64_e32 v[2:3], 0
	v_lshl_add_u64 v[4:5], v[6:7], 4, s[6:7]
	v_lshl_add_u64 v[8:9], v[6:7], 3, s[8:9]
	s_wait_xcnt 0x0
	s_mov_b32 s1, s13
	s_delay_alu instid0(VALU_DEP_2) | instskip(NEXT) | instid1(VALU_DEP_4)
	v_add_nc_u64_e32 v[10:11], 8, v[4:5]
	v_mov_b64_e32 v[4:5], v[2:3]
	s_wait_kmcnt 0x0
	s_lshl_b32 s0, s16, 8
	s_mov_b32 s16, s13
	s_lshl_b64 s[6:7], s[0:1], 4
	s_lshl_b64 s[8:9], s[0:1], 3
.LBB5_2:                                ; =>This Inner Loop Header: Depth=1
	global_load_b64 v[12:13], v[8:9], off
	v_add_nc_u64_e32 v[6:7], s[0:1], v[6:7]
	s_wait_xcnt 0x0
	v_add_nc_u64_e32 v[8:9], s[8:9], v[8:9]
	s_delay_alu instid0(VALU_DEP_2) | instskip(SKIP_3) | instid1(VALU_DEP_1)
	v_cmp_le_i64_e32 vcc_lo, s[4:5], v[6:7]
	s_or_b32 s16, vcc_lo, s16
	s_wait_loadcnt 0x0
	v_sub_nc_u64_e64 v[12:13], v[12:13], s[12:13]
	v_lshl_add_u64 v[20:21], v[12:13], 4, s[10:11]
	global_load_b128 v[12:15], v[10:11], off offset:-8
	global_load_b128 v[16:19], v[20:21], off
	s_wait_xcnt 0x1
	v_add_nc_u64_e32 v[10:11], s[6:7], v[10:11]
	s_wait_loadcnt 0x0
	v_fmac_f64_e32 v[2:3], v[16:17], v[12:13]
	v_fmac_f64_e32 v[4:5], v[18:19], v[12:13]
	s_delay_alu instid0(VALU_DEP_2) | instskip(NEXT) | instid1(VALU_DEP_2)
	v_fmac_f64_e32 v[2:3], v[18:19], v[14:15]
	v_fma_f64 v[4:5], v[16:17], -v[14:15], v[4:5]
	s_and_not1_b32 exec_lo, exec_lo, s16
	s_cbranch_execnz .LBB5_2
; %bb.3:
	s_or_b32 exec_lo, exec_lo, s16
.LBB5_4:
	s_delay_alu instid0(SALU_CYCLE_1)
	s_or_b32 exec_lo, exec_lo, s15
	v_lshlrev_b32_e32 v1, 4, v0
	s_mov_b32 s0, exec_lo
	ds_store_b128 v1, v[2:5]
	s_wait_dscnt 0x0
	s_barrier_signal -1
	s_barrier_wait -1
	v_cmpx_gt_u32_e32 0x80, v0
	s_cbranch_execz .LBB5_6
; %bb.5:
	ds_load_b128 v[2:5], v1 offset:2048
	ds_load_b128 v[6:9], v1
	s_wait_dscnt 0x0
	v_add_f64_e32 v[2:3], v[2:3], v[6:7]
	v_add_f64_e32 v[4:5], v[4:5], v[8:9]
	ds_store_b128 v1, v[2:5]
.LBB5_6:
	s_or_b32 exec_lo, exec_lo, s0
	s_delay_alu instid0(SALU_CYCLE_1)
	s_mov_b32 s0, exec_lo
	s_wait_dscnt 0x0
	s_barrier_signal -1
	s_barrier_wait -1
	v_cmpx_gt_u32_e32 64, v0
	s_cbranch_execz .LBB5_8
; %bb.7:
	ds_load_b128 v[2:5], v1 offset:1024
	ds_load_b128 v[6:9], v1
	s_wait_dscnt 0x0
	v_add_f64_e32 v[2:3], v[2:3], v[6:7]
	v_add_f64_e32 v[4:5], v[4:5], v[8:9]
	ds_store_b128 v1, v[2:5]
.LBB5_8:
	s_or_b32 exec_lo, exec_lo, s0
	s_delay_alu instid0(SALU_CYCLE_1)
	s_mov_b32 s0, exec_lo
	;; [unrolled: 16-line block ×6, first 2 shown]
	s_wait_dscnt 0x0
	s_barrier_signal -1
	s_barrier_wait -1
	v_cmpx_gt_u32_e32 2, v0
	s_cbranch_execz .LBB5_18
; %bb.17:
	ds_load_b128 v[2:5], v1
	ds_load_b128 v[6:9], v1 offset:32
	s_wait_dscnt 0x0
	v_add_f64_e32 v[2:3], v[6:7], v[2:3]
	v_add_f64_e32 v[4:5], v[8:9], v[4:5]
	ds_store_b128 v1, v[2:5]
.LBB5_18:
	s_or_b32 exec_lo, exec_lo, s0
	v_cmp_eq_u32_e32 vcc_lo, 0, v0
	s_wait_dscnt 0x0
	s_barrier_signal -1
	s_barrier_wait -1
	s_and_saveexec_b32 s0, vcc_lo
	s_cbranch_execz .LBB5_20
; %bb.19:
	v_mov_b32_e32 v8, 0
	ds_load_b128 v[0:3], v8
	ds_load_b128 v[4:7], v8 offset:16
	s_wait_dscnt 0x0
	v_add_f64_e32 v[0:1], v[4:5], v[0:1]
	v_add_f64_e32 v[2:3], v[6:7], v[2:3]
	ds_store_b128 v8, v[0:3]
.LBB5_20:
	s_or_b32 exec_lo, exec_lo, s0
	s_wait_dscnt 0x0
	s_barrier_signal -1
	s_barrier_wait -1
	s_and_saveexec_b32 s0, vcc_lo
	s_cbranch_execz .LBB5_22
; %bb.21:
	v_dual_mov_b32 v0, 0 :: v_dual_mov_b32 v4, s14
	ds_load_b128 v[0:3], v0
	s_wait_dscnt 0x0
	global_store_b128 v4, v[0:3], s[2:3] scale_offset
.LBB5_22:
	s_endpgm
	.section	.rodata,"a",@progbits
	.p2align	6, 0x0
	.amdhsa_kernel _ZN9rocsparseL18dotci_kernel_part1ILj256El21rocsparse_complex_numIdES2_S2_EEvT0_PKT1_PKS3_PKT2_PT3_21rocsparse_index_base_
		.amdhsa_group_segment_fixed_size 4096
		.amdhsa_private_segment_fixed_size 0
		.amdhsa_kernarg_size 304
		.amdhsa_user_sgpr_count 2
		.amdhsa_user_sgpr_dispatch_ptr 0
		.amdhsa_user_sgpr_queue_ptr 0
		.amdhsa_user_sgpr_kernarg_segment_ptr 1
		.amdhsa_user_sgpr_dispatch_id 0
		.amdhsa_user_sgpr_kernarg_preload_length 0
		.amdhsa_user_sgpr_kernarg_preload_offset 0
		.amdhsa_user_sgpr_private_segment_size 0
		.amdhsa_wavefront_size32 1
		.amdhsa_uses_dynamic_stack 0
		.amdhsa_enable_private_segment 0
		.amdhsa_system_sgpr_workgroup_id_x 1
		.amdhsa_system_sgpr_workgroup_id_y 0
		.amdhsa_system_sgpr_workgroup_id_z 0
		.amdhsa_system_sgpr_workgroup_info 0
		.amdhsa_system_vgpr_workitem_id 0
		.amdhsa_next_free_vgpr 22
		.amdhsa_next_free_sgpr 17
		.amdhsa_named_barrier_count 0
		.amdhsa_reserve_vcc 1
		.amdhsa_float_round_mode_32 0
		.amdhsa_float_round_mode_16_64 0
		.amdhsa_float_denorm_mode_32 3
		.amdhsa_float_denorm_mode_16_64 3
		.amdhsa_fp16_overflow 0
		.amdhsa_memory_ordered 1
		.amdhsa_forward_progress 1
		.amdhsa_inst_pref_size 8
		.amdhsa_round_robin_scheduling 0
		.amdhsa_exception_fp_ieee_invalid_op 0
		.amdhsa_exception_fp_denorm_src 0
		.amdhsa_exception_fp_ieee_div_zero 0
		.amdhsa_exception_fp_ieee_overflow 0
		.amdhsa_exception_fp_ieee_underflow 0
		.amdhsa_exception_fp_ieee_inexact 0
		.amdhsa_exception_int_div_zero 0
	.end_amdhsa_kernel
	.section	.text._ZN9rocsparseL18dotci_kernel_part1ILj256El21rocsparse_complex_numIdES2_S2_EEvT0_PKT1_PKS3_PKT2_PT3_21rocsparse_index_base_,"axG",@progbits,_ZN9rocsparseL18dotci_kernel_part1ILj256El21rocsparse_complex_numIdES2_S2_EEvT0_PKT1_PKS3_PKT2_PT3_21rocsparse_index_base_,comdat
.Lfunc_end5:
	.size	_ZN9rocsparseL18dotci_kernel_part1ILj256El21rocsparse_complex_numIdES2_S2_EEvT0_PKT1_PKS3_PKT2_PT3_21rocsparse_index_base_, .Lfunc_end5-_ZN9rocsparseL18dotci_kernel_part1ILj256El21rocsparse_complex_numIdES2_S2_EEvT0_PKT1_PKS3_PKT2_PT3_21rocsparse_index_base_
                                        ; -- End function
	.set _ZN9rocsparseL18dotci_kernel_part1ILj256El21rocsparse_complex_numIdES2_S2_EEvT0_PKT1_PKS3_PKT2_PT3_21rocsparse_index_base_.num_vgpr, 22
	.set _ZN9rocsparseL18dotci_kernel_part1ILj256El21rocsparse_complex_numIdES2_S2_EEvT0_PKT1_PKS3_PKT2_PT3_21rocsparse_index_base_.num_agpr, 0
	.set _ZN9rocsparseL18dotci_kernel_part1ILj256El21rocsparse_complex_numIdES2_S2_EEvT0_PKT1_PKS3_PKT2_PT3_21rocsparse_index_base_.numbered_sgpr, 17
	.set _ZN9rocsparseL18dotci_kernel_part1ILj256El21rocsparse_complex_numIdES2_S2_EEvT0_PKT1_PKS3_PKT2_PT3_21rocsparse_index_base_.num_named_barrier, 0
	.set _ZN9rocsparseL18dotci_kernel_part1ILj256El21rocsparse_complex_numIdES2_S2_EEvT0_PKT1_PKS3_PKT2_PT3_21rocsparse_index_base_.private_seg_size, 0
	.set _ZN9rocsparseL18dotci_kernel_part1ILj256El21rocsparse_complex_numIdES2_S2_EEvT0_PKT1_PKS3_PKT2_PT3_21rocsparse_index_base_.uses_vcc, 1
	.set _ZN9rocsparseL18dotci_kernel_part1ILj256El21rocsparse_complex_numIdES2_S2_EEvT0_PKT1_PKS3_PKT2_PT3_21rocsparse_index_base_.uses_flat_scratch, 0
	.set _ZN9rocsparseL18dotci_kernel_part1ILj256El21rocsparse_complex_numIdES2_S2_EEvT0_PKT1_PKS3_PKT2_PT3_21rocsparse_index_base_.has_dyn_sized_stack, 0
	.set _ZN9rocsparseL18dotci_kernel_part1ILj256El21rocsparse_complex_numIdES2_S2_EEvT0_PKT1_PKS3_PKT2_PT3_21rocsparse_index_base_.has_recursion, 0
	.set _ZN9rocsparseL18dotci_kernel_part1ILj256El21rocsparse_complex_numIdES2_S2_EEvT0_PKT1_PKS3_PKT2_PT3_21rocsparse_index_base_.has_indirect_call, 0
	.section	.AMDGPU.csdata,"",@progbits
; Kernel info:
; codeLenInByte = 936
; TotalNumSgprs: 19
; NumVgprs: 22
; ScratchSize: 0
; MemoryBound: 0
; FloatMode: 240
; IeeeMode: 1
; LDSByteSize: 4096 bytes/workgroup (compile time only)
; SGPRBlocks: 0
; VGPRBlocks: 1
; NumSGPRsForWavesPerEU: 19
; NumVGPRsForWavesPerEU: 22
; NamedBarCnt: 0
; Occupancy: 16
; WaveLimiterHint : 1
; COMPUTE_PGM_RSRC2:SCRATCH_EN: 0
; COMPUTE_PGM_RSRC2:USER_SGPR: 2
; COMPUTE_PGM_RSRC2:TRAP_HANDLER: 0
; COMPUTE_PGM_RSRC2:TGID_X_EN: 1
; COMPUTE_PGM_RSRC2:TGID_Y_EN: 0
; COMPUTE_PGM_RSRC2:TGID_Z_EN: 0
; COMPUTE_PGM_RSRC2:TIDIG_COMP_CNT: 0
	.section	.AMDGPU.gpr_maximums,"",@progbits
	.set amdgpu.max_num_vgpr, 0
	.set amdgpu.max_num_agpr, 0
	.set amdgpu.max_num_sgpr, 0
	.section	.AMDGPU.csdata,"",@progbits
	.type	__hip_cuid_41df1f49712751b7,@object ; @__hip_cuid_41df1f49712751b7
	.section	.bss,"aw",@nobits
	.globl	__hip_cuid_41df1f49712751b7
__hip_cuid_41df1f49712751b7:
	.byte	0                               ; 0x0
	.size	__hip_cuid_41df1f49712751b7, 1

	.ident	"AMD clang version 22.0.0git (https://github.com/RadeonOpenCompute/llvm-project roc-7.2.4 26084 f58b06dce1f9c15707c5f808fd002e18c2accf7e)"
	.section	".note.GNU-stack","",@progbits
	.addrsig
	.addrsig_sym __hip_cuid_41df1f49712751b7
	.amdgpu_metadata
---
amdhsa.kernels:
  - .args:
      - .offset:         0
        .size:           4
        .value_kind:     by_value
      - .address_space:  global
        .offset:         8
        .size:           8
        .value_kind:     global_buffer
      - .address_space:  global
        .offset:         16
        .size:           8
        .value_kind:     global_buffer
      - .address_space:  global
        .offset:         24
        .size:           8
        .value_kind:     global_buffer
      - .address_space:  global
        .offset:         32
        .size:           8
        .value_kind:     global_buffer
      - .offset:         40
        .size:           4
        .value_kind:     by_value
      - .offset:         48
        .size:           4
        .value_kind:     hidden_block_count_x
      - .offset:         52
        .size:           4
        .value_kind:     hidden_block_count_y
      - .offset:         56
        .size:           4
        .value_kind:     hidden_block_count_z
      - .offset:         60
        .size:           2
        .value_kind:     hidden_group_size_x
      - .offset:         62
        .size:           2
        .value_kind:     hidden_group_size_y
      - .offset:         64
        .size:           2
        .value_kind:     hidden_group_size_z
      - .offset:         66
        .size:           2
        .value_kind:     hidden_remainder_x
      - .offset:         68
        .size:           2
        .value_kind:     hidden_remainder_y
      - .offset:         70
        .size:           2
        .value_kind:     hidden_remainder_z
      - .offset:         88
        .size:           8
        .value_kind:     hidden_global_offset_x
      - .offset:         96
        .size:           8
        .value_kind:     hidden_global_offset_y
      - .offset:         104
        .size:           8
        .value_kind:     hidden_global_offset_z
      - .offset:         112
        .size:           2
        .value_kind:     hidden_grid_dims
    .group_segment_fixed_size: 2048
    .kernarg_segment_align: 8
    .kernarg_segment_size: 304
    .language:       OpenCL C
    .language_version:
      - 2
      - 0
    .max_flat_workgroup_size: 256
    .name:           _ZN9rocsparseL18dotci_kernel_part1ILj256Ei21rocsparse_complex_numIfES2_S2_EEvT0_PKT1_PKS3_PKT2_PT3_21rocsparse_index_base_
    .private_segment_fixed_size: 0
    .sgpr_count:     18
    .sgpr_spill_count: 0
    .symbol:         _ZN9rocsparseL18dotci_kernel_part1ILj256Ei21rocsparse_complex_numIfES2_S2_EEvT0_PKT1_PKS3_PKT2_PT3_21rocsparse_index_base_.kd
    .uniform_work_group_size: 1
    .uses_dynamic_stack: false
    .vgpr_count:     8
    .vgpr_spill_count: 0
    .wavefront_size: 32
  - .args:
      - .address_space:  global
        .offset:         0
        .size:           8
        .value_kind:     global_buffer
      - .address_space:  global
        .offset:         8
        .size:           8
        .value_kind:     global_buffer
    .group_segment_fixed_size: 2048
    .kernarg_segment_align: 8
    .kernarg_segment_size: 16
    .language:       OpenCL C
    .language_version:
      - 2
      - 0
    .max_flat_workgroup_size: 256
    .name:           _ZN9rocsparseL18dotci_kernel_part2ILj256E21rocsparse_complex_numIfEEEvPT0_S4_
    .private_segment_fixed_size: 0
    .sgpr_count:     7
    .sgpr_spill_count: 0
    .symbol:         _ZN9rocsparseL18dotci_kernel_part2ILj256E21rocsparse_complex_numIfEEEvPT0_S4_.kd
    .uniform_work_group_size: 1
    .uses_dynamic_stack: false
    .vgpr_count:     6
    .vgpr_spill_count: 0
    .wavefront_size: 32
  - .args:
      - .offset:         0
        .size:           8
        .value_kind:     by_value
      - .address_space:  global
        .offset:         8
        .size:           8
        .value_kind:     global_buffer
      - .address_space:  global
        .offset:         16
        .size:           8
        .value_kind:     global_buffer
      - .address_space:  global
        .offset:         24
        .size:           8
        .value_kind:     global_buffer
      - .address_space:  global
        .offset:         32
        .size:           8
        .value_kind:     global_buffer
      - .offset:         40
        .size:           4
        .value_kind:     by_value
      - .offset:         48
        .size:           4
        .value_kind:     hidden_block_count_x
      - .offset:         52
        .size:           4
        .value_kind:     hidden_block_count_y
      - .offset:         56
        .size:           4
        .value_kind:     hidden_block_count_z
      - .offset:         60
        .size:           2
        .value_kind:     hidden_group_size_x
      - .offset:         62
        .size:           2
        .value_kind:     hidden_group_size_y
      - .offset:         64
        .size:           2
        .value_kind:     hidden_group_size_z
      - .offset:         66
        .size:           2
        .value_kind:     hidden_remainder_x
      - .offset:         68
        .size:           2
        .value_kind:     hidden_remainder_y
      - .offset:         70
        .size:           2
        .value_kind:     hidden_remainder_z
      - .offset:         88
        .size:           8
        .value_kind:     hidden_global_offset_x
      - .offset:         96
        .size:           8
        .value_kind:     hidden_global_offset_y
      - .offset:         104
        .size:           8
        .value_kind:     hidden_global_offset_z
      - .offset:         112
        .size:           2
        .value_kind:     hidden_grid_dims
    .group_segment_fixed_size: 2048
    .kernarg_segment_align: 8
    .kernarg_segment_size: 304
    .language:       OpenCL C
    .language_version:
      - 2
      - 0
    .max_flat_workgroup_size: 256
    .name:           _ZN9rocsparseL18dotci_kernel_part1ILj256El21rocsparse_complex_numIfES2_S2_EEvT0_PKT1_PKS3_PKT2_PT3_21rocsparse_index_base_
    .private_segment_fixed_size: 0
    .sgpr_count:     21
    .sgpr_spill_count: 0
    .symbol:         _ZN9rocsparseL18dotci_kernel_part1ILj256El21rocsparse_complex_numIfES2_S2_EEvT0_PKT1_PKS3_PKT2_PT3_21rocsparse_index_base_.kd
    .uniform_work_group_size: 1
    .uses_dynamic_stack: false
    .vgpr_count:     16
    .vgpr_spill_count: 0
    .wavefront_size: 32
  - .args:
      - .offset:         0
        .size:           4
        .value_kind:     by_value
      - .address_space:  global
        .offset:         8
        .size:           8
        .value_kind:     global_buffer
      - .address_space:  global
        .offset:         16
        .size:           8
        .value_kind:     global_buffer
      - .address_space:  global
        .offset:         24
        .size:           8
        .value_kind:     global_buffer
      - .address_space:  global
        .offset:         32
        .size:           8
        .value_kind:     global_buffer
      - .offset:         40
        .size:           4
        .value_kind:     by_value
      - .offset:         48
        .size:           4
        .value_kind:     hidden_block_count_x
      - .offset:         52
        .size:           4
        .value_kind:     hidden_block_count_y
      - .offset:         56
        .size:           4
        .value_kind:     hidden_block_count_z
      - .offset:         60
        .size:           2
        .value_kind:     hidden_group_size_x
      - .offset:         62
        .size:           2
        .value_kind:     hidden_group_size_y
      - .offset:         64
        .size:           2
        .value_kind:     hidden_group_size_z
      - .offset:         66
        .size:           2
        .value_kind:     hidden_remainder_x
      - .offset:         68
        .size:           2
        .value_kind:     hidden_remainder_y
      - .offset:         70
        .size:           2
        .value_kind:     hidden_remainder_z
      - .offset:         88
        .size:           8
        .value_kind:     hidden_global_offset_x
      - .offset:         96
        .size:           8
        .value_kind:     hidden_global_offset_y
      - .offset:         104
        .size:           8
        .value_kind:     hidden_global_offset_z
      - .offset:         112
        .size:           2
        .value_kind:     hidden_grid_dims
    .group_segment_fixed_size: 4096
    .kernarg_segment_align: 8
    .kernarg_segment_size: 304
    .language:       OpenCL C
    .language_version:
      - 2
      - 0
    .max_flat_workgroup_size: 256
    .name:           _ZN9rocsparseL18dotci_kernel_part1ILj256Ei21rocsparse_complex_numIdES2_S2_EEvT0_PKT1_PKS3_PKT2_PT3_21rocsparse_index_base_
    .private_segment_fixed_size: 0
    .sgpr_count:     18
    .sgpr_spill_count: 0
    .symbol:         _ZN9rocsparseL18dotci_kernel_part1ILj256Ei21rocsparse_complex_numIdES2_S2_EEvT0_PKT1_PKS3_PKT2_PT3_21rocsparse_index_base_.kd
    .uniform_work_group_size: 1
    .uses_dynamic_stack: false
    .vgpr_count:     14
    .vgpr_spill_count: 0
    .wavefront_size: 32
  - .args:
      - .address_space:  global
        .offset:         0
        .size:           8
        .value_kind:     global_buffer
      - .address_space:  global
        .offset:         8
        .size:           8
        .value_kind:     global_buffer
    .group_segment_fixed_size: 4096
    .kernarg_segment_align: 8
    .kernarg_segment_size: 16
    .language:       OpenCL C
    .language_version:
      - 2
      - 0
    .max_flat_workgroup_size: 256
    .name:           _ZN9rocsparseL18dotci_kernel_part2ILj256E21rocsparse_complex_numIdEEEvPT0_S4_
    .private_segment_fixed_size: 0
    .sgpr_count:     7
    .sgpr_spill_count: 0
    .symbol:         _ZN9rocsparseL18dotci_kernel_part2ILj256E21rocsparse_complex_numIdEEEvPT0_S4_.kd
    .uniform_work_group_size: 1
    .uses_dynamic_stack: false
    .vgpr_count:     10
    .vgpr_spill_count: 0
    .wavefront_size: 32
  - .args:
      - .offset:         0
        .size:           8
        .value_kind:     by_value
      - .address_space:  global
        .offset:         8
        .size:           8
        .value_kind:     global_buffer
      - .address_space:  global
        .offset:         16
        .size:           8
        .value_kind:     global_buffer
      - .address_space:  global
        .offset:         24
        .size:           8
        .value_kind:     global_buffer
      - .address_space:  global
        .offset:         32
        .size:           8
        .value_kind:     global_buffer
      - .offset:         40
        .size:           4
        .value_kind:     by_value
      - .offset:         48
        .size:           4
        .value_kind:     hidden_block_count_x
      - .offset:         52
        .size:           4
        .value_kind:     hidden_block_count_y
      - .offset:         56
        .size:           4
        .value_kind:     hidden_block_count_z
      - .offset:         60
        .size:           2
        .value_kind:     hidden_group_size_x
      - .offset:         62
        .size:           2
        .value_kind:     hidden_group_size_y
      - .offset:         64
        .size:           2
        .value_kind:     hidden_group_size_z
      - .offset:         66
        .size:           2
        .value_kind:     hidden_remainder_x
      - .offset:         68
        .size:           2
        .value_kind:     hidden_remainder_y
      - .offset:         70
        .size:           2
        .value_kind:     hidden_remainder_z
      - .offset:         88
        .size:           8
        .value_kind:     hidden_global_offset_x
      - .offset:         96
        .size:           8
        .value_kind:     hidden_global_offset_y
      - .offset:         104
        .size:           8
        .value_kind:     hidden_global_offset_z
      - .offset:         112
        .size:           2
        .value_kind:     hidden_grid_dims
    .group_segment_fixed_size: 4096
    .kernarg_segment_align: 8
    .kernarg_segment_size: 304
    .language:       OpenCL C
    .language_version:
      - 2
      - 0
    .max_flat_workgroup_size: 256
    .name:           _ZN9rocsparseL18dotci_kernel_part1ILj256El21rocsparse_complex_numIdES2_S2_EEvT0_PKT1_PKS3_PKT2_PT3_21rocsparse_index_base_
    .private_segment_fixed_size: 0
    .sgpr_count:     19
    .sgpr_spill_count: 0
    .symbol:         _ZN9rocsparseL18dotci_kernel_part1ILj256El21rocsparse_complex_numIdES2_S2_EEvT0_PKT1_PKS3_PKT2_PT3_21rocsparse_index_base_.kd
    .uniform_work_group_size: 1
    .uses_dynamic_stack: false
    .vgpr_count:     22
    .vgpr_spill_count: 0
    .wavefront_size: 32
amdhsa.target:   amdgcn-amd-amdhsa--gfx1250
amdhsa.version:
  - 1
  - 2
...

	.end_amdgpu_metadata
